;; amdgpu-corpus repo=ROCm/rocFFT kind=compiled arch=gfx906 opt=O3
	.text
	.amdgcn_target "amdgcn-amd-amdhsa--gfx906"
	.amdhsa_code_object_version 6
	.protected	fft_rtc_back_len1666_factors_17_2_7_7_wgs_119_tpt_119_halfLds_sp_ip_CI_sbrr_dirReg ; -- Begin function fft_rtc_back_len1666_factors_17_2_7_7_wgs_119_tpt_119_halfLds_sp_ip_CI_sbrr_dirReg
	.globl	fft_rtc_back_len1666_factors_17_2_7_7_wgs_119_tpt_119_halfLds_sp_ip_CI_sbrr_dirReg
	.p2align	8
	.type	fft_rtc_back_len1666_factors_17_2_7_7_wgs_119_tpt_119_halfLds_sp_ip_CI_sbrr_dirReg,@function
fft_rtc_back_len1666_factors_17_2_7_7_wgs_119_tpt_119_halfLds_sp_ip_CI_sbrr_dirReg: ; @fft_rtc_back_len1666_factors_17_2_7_7_wgs_119_tpt_119_halfLds_sp_ip_CI_sbrr_dirReg
; %bb.0:
	s_load_dwordx2 s[2:3], s[4:5], 0x18
	s_load_dwordx4 s[8:11], s[4:5], 0x0
	s_load_dwordx2 s[14:15], s[4:5], 0x50
	v_mul_u32_u24_e32 v1, 0x227, v0
	v_add_u32_sdwa v5, s6, v1 dst_sel:DWORD dst_unused:UNUSED_PAD src0_sel:DWORD src1_sel:WORD_1
	s_waitcnt lgkmcnt(0)
	s_load_dwordx2 s[12:13], s[2:3], 0x0
	v_cmp_lt_u64_e64 s[0:1], s[10:11], 2
	v_mov_b32_e32 v3, 0
	v_mov_b32_e32 v1, 0
	;; [unrolled: 1-line block ×3, first 2 shown]
	s_and_b64 vcc, exec, s[0:1]
	v_mov_b32_e32 v2, 0
	s_cbranch_vccnz .LBB0_8
; %bb.1:
	s_load_dwordx2 s[0:1], s[4:5], 0x10
	s_add_u32 s6, s2, 8
	s_addc_u32 s7, s3, 0
	v_mov_b32_e32 v1, 0
	v_mov_b32_e32 v2, 0
	s_waitcnt lgkmcnt(0)
	s_add_u32 s16, s0, 8
	s_addc_u32 s17, s1, 0
	s_mov_b64 s[18:19], 1
.LBB0_2:                                ; =>This Inner Loop Header: Depth=1
	s_load_dwordx2 s[20:21], s[16:17], 0x0
                                        ; implicit-def: $vgpr7_vgpr8
	s_waitcnt lgkmcnt(0)
	v_or_b32_e32 v4, s21, v6
	v_cmp_ne_u64_e32 vcc, 0, v[3:4]
	s_and_saveexec_b64 s[0:1], vcc
	s_xor_b64 s[22:23], exec, s[0:1]
	s_cbranch_execz .LBB0_4
; %bb.3:                                ;   in Loop: Header=BB0_2 Depth=1
	v_cvt_f32_u32_e32 v4, s20
	v_cvt_f32_u32_e32 v7, s21
	s_sub_u32 s0, 0, s20
	s_subb_u32 s1, 0, s21
	v_mac_f32_e32 v4, 0x4f800000, v7
	v_rcp_f32_e32 v4, v4
	v_mul_f32_e32 v4, 0x5f7ffffc, v4
	v_mul_f32_e32 v7, 0x2f800000, v4
	v_trunc_f32_e32 v7, v7
	v_mac_f32_e32 v4, 0xcf800000, v7
	v_cvt_u32_f32_e32 v7, v7
	v_cvt_u32_f32_e32 v4, v4
	v_mul_lo_u32 v8, s0, v7
	v_mul_hi_u32 v9, s0, v4
	v_mul_lo_u32 v11, s1, v4
	v_mul_lo_u32 v10, s0, v4
	v_add_u32_e32 v8, v9, v8
	v_add_u32_e32 v8, v8, v11
	v_mul_hi_u32 v9, v4, v10
	v_mul_lo_u32 v11, v4, v8
	v_mul_hi_u32 v13, v4, v8
	v_mul_hi_u32 v12, v7, v10
	v_mul_lo_u32 v10, v7, v10
	v_mul_hi_u32 v14, v7, v8
	v_add_co_u32_e32 v9, vcc, v9, v11
	v_addc_co_u32_e32 v11, vcc, 0, v13, vcc
	v_mul_lo_u32 v8, v7, v8
	v_add_co_u32_e32 v9, vcc, v9, v10
	v_addc_co_u32_e32 v9, vcc, v11, v12, vcc
	v_addc_co_u32_e32 v10, vcc, 0, v14, vcc
	v_add_co_u32_e32 v8, vcc, v9, v8
	v_addc_co_u32_e32 v9, vcc, 0, v10, vcc
	v_add_co_u32_e32 v4, vcc, v4, v8
	v_addc_co_u32_e32 v7, vcc, v7, v9, vcc
	v_mul_lo_u32 v8, s0, v7
	v_mul_hi_u32 v9, s0, v4
	v_mul_lo_u32 v10, s1, v4
	v_mul_lo_u32 v11, s0, v4
	v_add_u32_e32 v8, v9, v8
	v_add_u32_e32 v8, v8, v10
	v_mul_lo_u32 v12, v4, v8
	v_mul_hi_u32 v13, v4, v11
	v_mul_hi_u32 v14, v4, v8
	;; [unrolled: 1-line block ×3, first 2 shown]
	v_mul_lo_u32 v11, v7, v11
	v_mul_hi_u32 v9, v7, v8
	v_add_co_u32_e32 v12, vcc, v13, v12
	v_addc_co_u32_e32 v13, vcc, 0, v14, vcc
	v_mul_lo_u32 v8, v7, v8
	v_add_co_u32_e32 v11, vcc, v12, v11
	v_addc_co_u32_e32 v10, vcc, v13, v10, vcc
	v_addc_co_u32_e32 v9, vcc, 0, v9, vcc
	v_add_co_u32_e32 v8, vcc, v10, v8
	v_addc_co_u32_e32 v9, vcc, 0, v9, vcc
	v_add_co_u32_e32 v4, vcc, v4, v8
	v_addc_co_u32_e32 v9, vcc, v7, v9, vcc
	v_mad_u64_u32 v[7:8], s[0:1], v5, v9, 0
	v_mul_hi_u32 v10, v5, v4
	v_add_co_u32_e32 v11, vcc, v10, v7
	v_addc_co_u32_e32 v12, vcc, 0, v8, vcc
	v_mad_u64_u32 v[7:8], s[0:1], v6, v4, 0
	v_mad_u64_u32 v[9:10], s[0:1], v6, v9, 0
	v_add_co_u32_e32 v4, vcc, v11, v7
	v_addc_co_u32_e32 v4, vcc, v12, v8, vcc
	v_addc_co_u32_e32 v7, vcc, 0, v10, vcc
	v_add_co_u32_e32 v4, vcc, v4, v9
	v_addc_co_u32_e32 v9, vcc, 0, v7, vcc
	v_mul_lo_u32 v10, s21, v4
	v_mul_lo_u32 v11, s20, v9
	v_mad_u64_u32 v[7:8], s[0:1], s20, v4, 0
	v_add3_u32 v8, v8, v11, v10
	v_sub_u32_e32 v10, v6, v8
	v_mov_b32_e32 v11, s21
	v_sub_co_u32_e32 v7, vcc, v5, v7
	v_subb_co_u32_e64 v10, s[0:1], v10, v11, vcc
	v_subrev_co_u32_e64 v11, s[0:1], s20, v7
	v_subbrev_co_u32_e64 v10, s[0:1], 0, v10, s[0:1]
	v_cmp_le_u32_e64 s[0:1], s21, v10
	v_cndmask_b32_e64 v12, 0, -1, s[0:1]
	v_cmp_le_u32_e64 s[0:1], s20, v11
	v_cndmask_b32_e64 v11, 0, -1, s[0:1]
	v_cmp_eq_u32_e64 s[0:1], s21, v10
	v_cndmask_b32_e64 v10, v12, v11, s[0:1]
	v_add_co_u32_e64 v11, s[0:1], 2, v4
	v_addc_co_u32_e64 v12, s[0:1], 0, v9, s[0:1]
	v_add_co_u32_e64 v13, s[0:1], 1, v4
	v_addc_co_u32_e64 v14, s[0:1], 0, v9, s[0:1]
	v_subb_co_u32_e32 v8, vcc, v6, v8, vcc
	v_cmp_ne_u32_e64 s[0:1], 0, v10
	v_cmp_le_u32_e32 vcc, s21, v8
	v_cndmask_b32_e64 v10, v14, v12, s[0:1]
	v_cndmask_b32_e64 v12, 0, -1, vcc
	v_cmp_le_u32_e32 vcc, s20, v7
	v_cndmask_b32_e64 v7, 0, -1, vcc
	v_cmp_eq_u32_e32 vcc, s21, v8
	v_cndmask_b32_e32 v7, v12, v7, vcc
	v_cmp_ne_u32_e32 vcc, 0, v7
	v_cndmask_b32_e64 v7, v13, v11, s[0:1]
	v_cndmask_b32_e32 v8, v9, v10, vcc
	v_cndmask_b32_e32 v7, v4, v7, vcc
.LBB0_4:                                ;   in Loop: Header=BB0_2 Depth=1
	s_andn2_saveexec_b64 s[0:1], s[22:23]
	s_cbranch_execz .LBB0_6
; %bb.5:                                ;   in Loop: Header=BB0_2 Depth=1
	v_cvt_f32_u32_e32 v4, s20
	s_sub_i32 s22, 0, s20
	v_rcp_iflag_f32_e32 v4, v4
	v_mul_f32_e32 v4, 0x4f7ffffe, v4
	v_cvt_u32_f32_e32 v4, v4
	v_mul_lo_u32 v7, s22, v4
	v_mul_hi_u32 v7, v4, v7
	v_add_u32_e32 v4, v4, v7
	v_mul_hi_u32 v4, v5, v4
	v_mul_lo_u32 v7, v4, s20
	v_add_u32_e32 v8, 1, v4
	v_sub_u32_e32 v7, v5, v7
	v_subrev_u32_e32 v9, s20, v7
	v_cmp_le_u32_e32 vcc, s20, v7
	v_cndmask_b32_e32 v7, v7, v9, vcc
	v_cndmask_b32_e32 v4, v4, v8, vcc
	v_add_u32_e32 v8, 1, v4
	v_cmp_le_u32_e32 vcc, s20, v7
	v_cndmask_b32_e32 v7, v4, v8, vcc
	v_mov_b32_e32 v8, v3
.LBB0_6:                                ;   in Loop: Header=BB0_2 Depth=1
	s_or_b64 exec, exec, s[0:1]
	v_mul_lo_u32 v4, v8, s20
	v_mul_lo_u32 v11, v7, s21
	v_mad_u64_u32 v[9:10], s[0:1], v7, s20, 0
	s_load_dwordx2 s[0:1], s[6:7], 0x0
	s_add_u32 s18, s18, 1
	v_add3_u32 v4, v10, v11, v4
	v_sub_co_u32_e32 v5, vcc, v5, v9
	v_subb_co_u32_e32 v4, vcc, v6, v4, vcc
	s_waitcnt lgkmcnt(0)
	v_mul_lo_u32 v4, s0, v4
	v_mul_lo_u32 v6, s1, v5
	v_mad_u64_u32 v[1:2], s[0:1], s0, v5, v[1:2]
	s_addc_u32 s19, s19, 0
	s_add_u32 s6, s6, 8
	v_add3_u32 v2, v6, v2, v4
	v_mov_b32_e32 v4, s10
	v_mov_b32_e32 v5, s11
	s_addc_u32 s7, s7, 0
	v_cmp_ge_u64_e32 vcc, s[18:19], v[4:5]
	s_add_u32 s16, s16, 8
	s_addc_u32 s17, s17, 0
	s_cbranch_vccnz .LBB0_9
; %bb.7:                                ;   in Loop: Header=BB0_2 Depth=1
	v_mov_b32_e32 v5, v7
	v_mov_b32_e32 v6, v8
	s_branch .LBB0_2
.LBB0_8:
	v_mov_b32_e32 v8, v6
	v_mov_b32_e32 v7, v5
.LBB0_9:
	s_lshl_b64 s[0:1], s[10:11], 3
	s_add_u32 s0, s2, s0
	s_addc_u32 s1, s3, s1
	s_load_dwordx2 s[2:3], s[0:1], 0x0
	s_load_dwordx2 s[6:7], s[4:5], 0x20
	v_mov_b32_e32 v27, 0
	v_mov_b32_e32 v26, 0
                                        ; implicit-def: $vgpr33
                                        ; implicit-def: $vgpr29
                                        ; implicit-def: $vgpr23
                                        ; implicit-def: $vgpr19
                                        ; implicit-def: $vgpr15
                                        ; implicit-def: $vgpr11
                                        ; implicit-def: $vgpr9
                                        ; implicit-def: $vgpr13
                                        ; implicit-def: $vgpr17
                                        ; implicit-def: $vgpr35
                                        ; implicit-def: $vgpr31
                                        ; implicit-def: $vgpr25
                                        ; implicit-def: $vgpr21
	s_waitcnt lgkmcnt(0)
	v_mad_u64_u32 v[1:2], s[0:1], s2, v7, v[1:2]
	s_mov_b32 s0, 0x226b903
	v_mul_lo_u32 v3, s2, v8
	v_mul_lo_u32 v4, s3, v7
	v_mul_hi_u32 v5, v0, s0
	v_cmp_gt_u64_e32 vcc, s[6:7], v[7:8]
	s_movk_i32 s0, 0x62
	v_add3_u32 v2, v4, v2, v3
	v_mul_u32_u24_e32 v3, 0x77, v5
	v_sub_u32_e32 v50, v0, v3
	v_cmp_gt_u32_e64 s[0:1], s0, v50
	v_lshlrev_b64 v[0:1], 3, v[1:2]
	s_and_b64 s[2:3], vcc, s[0:1]
                                        ; implicit-def: $vgpr7
                                        ; implicit-def: $vgpr3
                                        ; implicit-def: $vgpr5
	s_and_saveexec_b64 s[4:5], s[2:3]
	s_cbranch_execz .LBB0_11
; %bb.10:
	v_mad_u64_u32 v[2:3], s[2:3], s12, v50, 0
	v_add_u32_e32 v7, 0x62, v50
	v_mov_b32_e32 v6, s15
	v_mad_u64_u32 v[3:4], s[2:3], s13, v50, v[3:4]
	v_mad_u64_u32 v[4:5], s[2:3], s12, v7, 0
	v_add_co_u32_e64 v10, s[2:3], s14, v0
	v_addc_co_u32_e64 v11, s[2:3], v6, v1, s[2:3]
	v_mad_u64_u32 v[5:6], s[2:3], s13, v7, v[5:6]
	v_add_u32_e32 v8, 0xc4, v50
	v_mad_u64_u32 v[6:7], s[2:3], s12, v8, 0
	v_lshlrev_b64 v[2:3], 3, v[2:3]
	v_add_co_u32_e64 v30, s[2:3], v10, v2
	v_addc_co_u32_e64 v31, s[2:3], v11, v3, s[2:3]
	v_lshlrev_b64 v[2:3], 3, v[4:5]
	v_mov_b32_e32 v4, v7
	v_mad_u64_u32 v[4:5], s[2:3], s13, v8, v[4:5]
	v_add_u32_e32 v5, 0x126, v50
	v_mad_u64_u32 v[8:9], s[2:3], s12, v5, 0
	v_add_co_u32_e64 v34, s[2:3], v10, v2
	v_mov_b32_e32 v7, v4
	v_mov_b32_e32 v4, v9
	v_addc_co_u32_e64 v35, s[2:3], v11, v3, s[2:3]
	v_lshlrev_b64 v[2:3], 3, v[6:7]
	v_mad_u64_u32 v[4:5], s[2:3], s13, v5, v[4:5]
	v_add_u32_e32 v7, 0x188, v50
	v_mad_u64_u32 v[5:6], s[2:3], s12, v7, 0
	v_add_co_u32_e64 v36, s[2:3], v10, v2
	v_mov_b32_e32 v9, v4
	v_mov_b32_e32 v4, v6
	v_addc_co_u32_e64 v37, s[2:3], v11, v3, s[2:3]
	v_lshlrev_b64 v[2:3], 3, v[8:9]
	v_mad_u64_u32 v[6:7], s[2:3], s13, v7, v[4:5]
	v_add_u32_e32 v9, 0x1ea, v50
	v_mad_u64_u32 v[7:8], s[2:3], s12, v9, 0
	v_add_co_u32_e64 v38, s[2:3], v10, v2
	v_mov_b32_e32 v4, v8
	v_addc_co_u32_e64 v39, s[2:3], v11, v3, s[2:3]
	v_lshlrev_b64 v[2:3], 3, v[5:6]
	v_mad_u64_u32 v[4:5], s[2:3], s13, v9, v[4:5]
	v_add_u32_e32 v9, 0x24c, v50
	v_mad_u64_u32 v[5:6], s[2:3], s12, v9, 0
	v_add_co_u32_e64 v40, s[2:3], v10, v2
	v_mov_b32_e32 v8, v4
	v_mov_b32_e32 v4, v6
	v_addc_co_u32_e64 v41, s[2:3], v11, v3, s[2:3]
	v_lshlrev_b64 v[2:3], 3, v[7:8]
	v_mad_u64_u32 v[6:7], s[2:3], s13, v9, v[4:5]
	v_add_u32_e32 v9, 0x2ae, v50
	v_mad_u64_u32 v[7:8], s[2:3], s12, v9, 0
	v_add_co_u32_e64 v42, s[2:3], v10, v2
	;; [unrolled: 15-line block ×6, first 2 shown]
	v_mov_b32_e32 v4, v8
	v_addc_co_u32_e64 v60, s[2:3], v11, v3, s[2:3]
	v_lshlrev_b64 v[2:3], 3, v[5:6]
	v_mad_u64_u32 v[4:5], s[2:3], s13, v9, v[4:5]
	v_add_u32_e32 v9, 0x620, v50
	v_mad_u64_u32 v[5:6], s[2:3], s12, v9, 0
	v_add_co_u32_e64 v61, s[2:3], v10, v2
	v_mov_b32_e32 v8, v4
	v_mov_b32_e32 v4, v6
	v_addc_co_u32_e64 v62, s[2:3], v11, v3, s[2:3]
	v_lshlrev_b64 v[2:3], 3, v[7:8]
	v_mad_u64_u32 v[6:7], s[2:3], s13, v9, v[4:5]
	v_add_co_u32_e64 v63, s[2:3], v10, v2
	v_addc_co_u32_e64 v64, s[2:3], v11, v3, s[2:3]
	v_lshlrev_b64 v[2:3], 3, v[5:6]
	v_add_co_u32_e64 v65, s[2:3], v10, v2
	v_addc_co_u32_e64 v66, s[2:3], v11, v3, s[2:3]
	global_load_dwordx2 v[26:27], v[30:31], off
	global_load_dwordx2 v[32:33], v[34:35], off
	;; [unrolled: 1-line block ×15, first 2 shown]
                                        ; kill: killed $vgpr46 killed $vgpr47
                                        ; kill: killed $vgpr36 killed $vgpr37
                                        ; kill: killed $vgpr61 killed $vgpr62
                                        ; kill: killed $vgpr51 killed $vgpr52
                                        ; kill: killed $vgpr40 killed $vgpr41
                                        ; kill: killed $vgpr55 killed $vgpr56
                                        ; kill: killed $vgpr44 killed $vgpr45
                                        ; kill: killed $vgpr34 killed $vgpr35
                                        ; kill: killed $vgpr59 killed $vgpr60
                                        ; kill: killed $vgpr48 killed $vgpr49
                                        ; kill: killed $vgpr38 killed $vgpr39
                                        ; kill: killed $vgpr53 killed $vgpr54
                                        ; kill: killed $vgpr42 killed $vgpr43
                                        ; kill: killed $vgpr30 killed $vgpr31
                                        ; kill: killed $vgpr57 killed $vgpr58
	global_load_dwordx2 v[30:31], v[63:64], off
	global_load_dwordx2 v[34:35], v[65:66], off
.LBB0_11:
	s_or_b64 exec, exec, s[4:5]
	s_and_saveexec_b64 s[2:3], s[0:1]
	s_cbranch_execz .LBB0_13
; %bb.12:
	s_waitcnt vmcnt(0)
	v_add_f32_e32 v56, v32, v34
	v_mul_f32_e32 v36, 0xbf7ba420, v56
	v_add_f32_e32 v57, v28, v30
	v_sub_f32_e32 v46, v33, v35
	v_mov_b32_e32 v37, v36
	v_mul_f32_e32 v39, 0x3f6eb680, v57
	v_fmac_f32_e32 v37, 0x3e3c28d5, v46
	v_sub_f32_e32 v51, v29, v31
	v_mov_b32_e32 v38, v39
	v_add_f32_e32 v59, v22, v24
	v_add_f32_e32 v37, v26, v37
	v_fmac_f32_e32 v38, 0xbeb8f4ab, v51
	v_mul_f32_e32 v40, 0xbf59a7d5, v59
	v_add_f32_e32 v37, v37, v38
	v_sub_f32_e32 v54, v23, v25
	v_mov_b32_e32 v38, v40
	v_add_f32_e32 v60, v18, v20
	v_fmac_f32_e32 v38, 0x3f06c442, v54
	v_mul_f32_e32 v41, 0x3f3d2fb0, v60
	v_add_f32_e32 v37, v37, v38
	v_sub_f32_e32 v53, v19, v21
	v_mov_b32_e32 v38, v41
	;; [unrolled: 6-line block ×3, first 2 shown]
	v_add_f32_e32 v62, v10, v12
	v_fmac_f32_e32 v38, 0x3f4c4adb, v52
	v_mul_f32_e32 v43, 0x3ee437d1, v62
	v_fmac_f32_e32 v36, 0xbe3c28d5, v46
	v_add_f32_e32 v37, v38, v37
	v_sub_f32_e32 v49, v11, v13
	v_mov_b32_e32 v38, v43
	v_add_f32_e32 v63, v6, v8
	v_add_f32_e32 v36, v26, v36
	v_fmac_f32_e32 v39, 0x3eb8f4ab, v51
	v_fmac_f32_e32 v38, 0xbf65296c, v49
	v_mul_f32_e32 v44, 0xbe8c1d8e, v63
	v_add_f32_e32 v36, v36, v39
	v_fmac_f32_e32 v40, 0xbf06c442, v54
	v_add_f32_e32 v37, v38, v37
	v_sub_f32_e32 v48, v7, v9
	v_mov_b32_e32 v38, v44
	v_add_f32_e32 v64, v2, v4
	v_add_f32_e32 v36, v36, v40
	v_fmac_f32_e32 v41, 0x3f2c7751, v53
	v_fmac_f32_e32 v38, 0x3f763a35, v48
	v_mul_f32_e32 v45, 0x3dbcf732, v64
	v_add_f32_e32 v36, v36, v41
	v_fmac_f32_e32 v42, 0xbf4c4adb, v52
	v_add_f32_e32 v37, v38, v37
	v_sub_f32_e32 v47, v3, v5
	v_mov_b32_e32 v38, v45
	v_add_f32_e32 v36, v42, v36
	v_fmac_f32_e32 v43, 0x3f65296c, v49
	v_fmac_f32_e32 v38, 0xbf7ee86f, v47
	v_add_f32_e32 v36, v43, v36
	v_fmac_f32_e32 v44, 0xbf763a35, v48
	v_add_f32_e32 v38, v38, v37
	v_add_f32_e32 v36, v44, v36
	v_fmac_f32_e32 v45, 0x3f7ee86f, v47
	v_mul_f32_e32 v37, 0xbf59a7d5, v56
	v_add_f32_e32 v39, v45, v36
	v_mov_b32_e32 v36, v37
	v_mul_f32_e32 v40, 0x3ee437d1, v57
	v_fmac_f32_e32 v36, 0x3f06c442, v46
	v_mov_b32_e32 v41, v40
	v_add_f32_e32 v36, v26, v36
	v_fmac_f32_e32 v41, 0xbf65296c, v51
	v_add_f32_e32 v36, v36, v41
	v_mul_f32_e32 v41, 0x3dbcf732, v59
	v_mov_b32_e32 v42, v41
	v_fmac_f32_e32 v42, 0x3f7ee86f, v54
	v_add_f32_e32 v36, v36, v42
	v_mul_f32_e32 v42, 0xbf1a4643, v60
	v_mov_b32_e32 v43, v42
	;; [unrolled: 4-line block ×3, first 2 shown]
	v_fmac_f32_e32 v44, 0x3eb8f4ab, v52
	v_add_f32_e32 v36, v44, v36
	v_mul_f32_e32 v44, 0xbf7ba420, v62
	v_fmac_f32_e32 v37, 0xbf06c442, v46
	v_mov_b32_e32 v45, v44
	v_add_f32_e32 v37, v26, v37
	v_fmac_f32_e32 v40, 0x3f65296c, v51
	v_fmac_f32_e32 v45, 0x3e3c28d5, v49
	v_add_f32_e32 v37, v37, v40
	v_fmac_f32_e32 v41, 0xbf7ee86f, v54
	v_add_f32_e32 v36, v45, v36
	v_mul_f32_e32 v45, 0x3f3d2fb0, v63
	v_add_f32_e32 v37, v37, v41
	v_fmac_f32_e32 v42, 0x3f4c4adb, v53
	v_mov_b32_e32 v55, v45
	v_add_f32_e32 v37, v37, v42
	v_fmac_f32_e32 v43, 0xbeb8f4ab, v52
	v_fmac_f32_e32 v55, 0xbf2c7751, v48
	v_add_f32_e32 v37, v43, v37
	v_fmac_f32_e32 v44, 0xbe3c28d5, v49
	v_add_f32_e32 v36, v55, v36
	v_mul_f32_e32 v55, 0xbe8c1d8e, v64
	v_add_f32_e32 v37, v44, v37
	v_fmac_f32_e32 v45, 0x3f2c7751, v48
	v_mov_b32_e32 v58, v55
	v_add_f32_e32 v37, v45, v37
	v_fmac_f32_e32 v55, 0xbf763a35, v47
	v_mul_f32_e32 v40, 0xbf1a4643, v56
	v_add_f32_e32 v42, v55, v37
	v_mov_b32_e32 v37, v40
	v_mul_f32_e32 v41, 0xbe8c1d8e, v57
	v_fmac_f32_e32 v37, 0x3f4c4adb, v46
	v_mov_b32_e32 v43, v41
	v_add_f32_e32 v37, v26, v37
	v_fmac_f32_e32 v43, 0xbf763a35, v51
	v_add_f32_e32 v37, v37, v43
	v_mul_f32_e32 v43, 0x3f6eb680, v59
	v_mov_b32_e32 v44, v43
	v_fmac_f32_e32 v44, 0x3eb8f4ab, v54
	v_add_f32_e32 v37, v37, v44
	v_mul_f32_e32 v44, 0xbf59a7d5, v60
	v_mov_b32_e32 v45, v44
	v_fmac_f32_e32 v45, 0x3f06c442, v53
	v_add_f32_e32 v37, v37, v45
	v_mul_f32_e32 v45, 0x3dbcf732, v61
	v_mov_b32_e32 v55, v45
	v_fmac_f32_e32 v55, 0xbf7ee86f, v52
	v_fmac_f32_e32 v58, 0x3f763a35, v47
	v_add_f32_e32 v37, v55, v37
	v_mul_f32_e32 v55, 0x3f3d2fb0, v62
	v_fmac_f32_e32 v40, 0xbf4c4adb, v46
	v_add_f32_e32 v36, v58, v36
	v_mov_b32_e32 v58, v55
	v_add_f32_e32 v40, v26, v40
	v_fmac_f32_e32 v41, 0x3f763a35, v51
	v_fmac_f32_e32 v58, 0x3f2c7751, v49
	v_add_f32_e32 v40, v40, v41
	v_fmac_f32_e32 v43, 0xbeb8f4ab, v54
	v_add_f32_e32 v37, v58, v37
	v_mul_f32_e32 v58, 0xbf7ba420, v63
	v_add_f32_e32 v40, v40, v43
	v_fmac_f32_e32 v44, 0xbf06c442, v53
	v_mov_b32_e32 v65, v58
	v_add_f32_e32 v40, v40, v44
	v_fmac_f32_e32 v45, 0x3f7ee86f, v52
	v_fmac_f32_e32 v65, 0x3e3c28d5, v48
	v_add_f32_e32 v40, v45, v40
	v_fmac_f32_e32 v55, 0xbf2c7751, v49
	v_add_f32_e32 v37, v65, v37
	v_mul_f32_e32 v65, 0x3ee437d1, v64
	v_add_f32_e32 v40, v55, v40
	v_fmac_f32_e32 v58, 0xbe3c28d5, v48
	v_mov_b32_e32 v66, v65
	v_add_f32_e32 v40, v58, v40
	v_fmac_f32_e32 v65, 0x3f65296c, v47
	v_mul_f32_e32 v41, 0xbe8c1d8e, v56
	v_add_f32_e32 v44, v65, v40
	v_mov_b32_e32 v40, v41
	v_mul_f32_e32 v43, 0xbf59a7d5, v57
	v_fmac_f32_e32 v40, 0x3f763a35, v46
	v_mov_b32_e32 v45, v43
	v_add_f32_e32 v40, v26, v40
	v_fmac_f32_e32 v45, 0xbf06c442, v51
	v_add_f32_e32 v40, v40, v45
	v_mul_f32_e32 v45, 0x3f3d2fb0, v59
	v_mov_b32_e32 v55, v45
	v_fmac_f32_e32 v55, 0xbf2c7751, v54
	v_add_f32_e32 v40, v40, v55
	v_mul_f32_e32 v55, 0x3ee437d1, v60
	v_mov_b32_e32 v58, v55
	v_fmac_f32_e32 v58, 0x3f65296c, v53
	v_add_f32_e32 v40, v40, v58
	v_mul_f32_e32 v58, 0xbf7ba420, v61
	v_mov_b32_e32 v65, v58
	v_fmac_f32_e32 v65, 0x3e3c28d5, v52
	v_fmac_f32_e32 v66, 0xbf65296c, v47
	v_add_f32_e32 v40, v65, v40
	v_mul_f32_e32 v65, 0x3dbcf732, v62
	v_fmac_f32_e32 v41, 0xbf763a35, v46
	v_add_f32_e32 v37, v66, v37
	;; [unrolled: 48-line block ×4, first 2 shown]
	v_mov_b32_e32 v70, v69
	v_add_f32_e32 v45, v26, v45
	v_fmac_f32_e32 v65, 0xbf4c4adb, v51
	v_fmac_f32_e32 v70, 0x3eb8f4ab, v49
	v_add_f32_e32 v45, v45, v65
	v_fmac_f32_e32 v66, 0x3e3c28d5, v54
	v_add_f32_e32 v43, v70, v43
	v_mul_f32_e32 v70, 0x3dbcf732, v63
	v_add_f32_e32 v45, v45, v66
	v_fmac_f32_e32 v67, 0x3f763a35, v53
	v_mov_b32_e32 v71, v70
	v_add_f32_e32 v45, v45, v67
	v_fmac_f32_e32 v68, 0x3f2c7751, v52
	v_fmac_f32_e32 v71, 0x3f7ee86f, v48
	v_add_f32_e32 v45, v68, v45
	v_fmac_f32_e32 v69, 0xbeb8f4ab, v49
	v_add_f32_e32 v43, v71, v43
	v_mul_f32_e32 v71, 0xbf59a7d5, v64
	v_add_f32_e32 v45, v69, v45
	v_fmac_f32_e32 v70, 0xbf7ee86f, v48
	v_mov_b32_e32 v72, v71
	v_add_f32_e32 v45, v70, v45
	v_fmac_f32_e32 v71, 0xbf06c442, v47
	v_mul_f32_e32 v66, 0x3f3d2fb0, v56
	v_add_f32_e32 v65, v71, v45
	v_mov_b32_e32 v45, v66
	v_mul_f32_e32 v67, 0x3dbcf732, v57
	v_fmac_f32_e32 v45, 0x3f2c7751, v46
	v_mov_b32_e32 v68, v67
	v_fmac_f32_e32 v66, 0xbf2c7751, v46
	v_add_f32_e32 v45, v26, v45
	v_fmac_f32_e32 v68, 0x3f7ee86f, v51
	v_add_f32_e32 v66, v26, v66
	v_fmac_f32_e32 v67, 0xbf7ee86f, v51
	v_mul_f32_e32 v56, 0x3f6eb680, v56
	v_add_f32_e32 v45, v45, v68
	v_mul_f32_e32 v68, 0xbf1a4643, v59
	v_add_f32_e32 v66, v66, v67
	v_mov_b32_e32 v67, v56
	v_mov_b32_e32 v69, v68
	v_fmac_f32_e32 v67, 0x3eb8f4ab, v46
	v_fmac_f32_e32 v56, 0xbeb8f4ab, v46
	;; [unrolled: 1-line block ×3, first 2 shown]
	v_add_f32_e32 v67, v26, v67
	v_add_f32_e32 v46, v26, v56
	;; [unrolled: 1-line block ×4, first 2 shown]
	v_mul_f32_e32 v69, 0xbf7ba420, v60
	v_fmac_f32_e32 v68, 0xbf4c4adb, v54
	v_mul_f32_e32 v57, 0x3f3d2fb0, v57
	v_add_f32_e32 v26, v26, v28
	v_mov_b32_e32 v70, v69
	v_add_f32_e32 v66, v66, v68
	v_mov_b32_e32 v68, v57
	v_add_f32_e32 v26, v26, v22
	v_fmac_f32_e32 v70, 0x3e3c28d5, v53
	v_fmac_f32_e32 v68, 0x3f2c7751, v51
	v_mul_f32_e32 v59, 0x3ee437d1, v59
	v_add_f32_e32 v26, v26, v18
	v_add_f32_e32 v45, v45, v70
	v_mul_f32_e32 v70, 0xbf59a7d5, v61
	v_add_f32_e32 v67, v67, v68
	v_mov_b32_e32 v68, v59
	v_add_f32_e32 v26, v26, v14
	v_mov_b32_e32 v71, v70
	v_fmac_f32_e32 v68, 0x3f65296c, v54
	v_mul_f32_e32 v60, 0x3dbcf732, v60
	v_add_f32_e32 v26, v26, v10
	v_fmac_f32_e32 v71, 0xbf06c442, v52
	v_add_f32_e32 v67, v67, v68
	v_mov_b32_e32 v68, v60
	v_add_f32_e32 v26, v26, v6
	v_fmac_f32_e32 v72, 0x3f06c442, v47
	v_add_f32_e32 v45, v71, v45
	v_mul_f32_e32 v71, 0xbe8c1d8e, v62
	v_fmac_f32_e32 v68, 0x3f7ee86f, v53
	v_mul_f32_e32 v61, 0xbe8c1d8e, v61
	v_add_f32_e32 v26, v26, v2
	v_add_f32_e32 v43, v72, v43
	v_mov_b32_e32 v72, v71
	v_add_f32_e32 v67, v67, v68
	v_mov_b32_e32 v68, v61
	v_fmac_f32_e32 v57, 0xbf2c7751, v51
	v_add_f32_e32 v26, v26, v4
	v_fmac_f32_e32 v72, 0xbf763a35, v49
	v_fmac_f32_e32 v68, 0x3f763a35, v52
	v_mul_f32_e32 v62, 0xbf1a4643, v62
	v_add_f32_e32 v46, v46, v57
	v_fmac_f32_e32 v59, 0xbf65296c, v54
	v_add_f32_e32 v26, v26, v8
	v_add_f32_e32 v45, v72, v45
	v_mul_f32_e32 v72, 0x3ee437d1, v63
	v_add_f32_e32 v67, v68, v67
	v_mov_b32_e32 v68, v62
	v_add_f32_e32 v46, v46, v59
	v_fmac_f32_e32 v60, 0xbf7ee86f, v53
	v_add_f32_e32 v26, v26, v12
	v_mov_b32_e32 v73, v72
	v_fmac_f32_e32 v69, 0xbe3c28d5, v53
	v_fmac_f32_e32 v68, 0x3f4c4adb, v49
	v_mul_f32_e32 v63, 0xbf59a7d5, v63
	v_add_f32_e32 v46, v46, v60
	v_fmac_f32_e32 v61, 0xbf763a35, v52
	v_add_f32_e32 v26, v26, v16
	v_fmac_f32_e32 v73, 0xbf65296c, v48
	;; [unrolled: 2-line block ×3, first 2 shown]
	v_add_f32_e32 v67, v68, v67
	v_mov_b32_e32 v68, v63
	v_add_f32_e32 v46, v61, v46
	v_fmac_f32_e32 v62, 0xbf4c4adb, v49
	v_add_f32_e32 v26, v26, v20
	v_add_f32_e32 v45, v73, v45
	v_mul_f32_e32 v73, 0x3f6eb680, v64
	v_add_f32_e32 v66, v70, v66
	v_fmac_f32_e32 v71, 0x3f763a35, v49
	v_fmac_f32_e32 v68, 0x3f06c442, v48
	v_mul_f32_e32 v64, 0xbf7ba420, v64
	v_add_f32_e32 v46, v62, v46
	v_fmac_f32_e32 v63, 0xbf06c442, v48
	v_add_f32_e32 v26, v24, v26
	v_mov_b32_e32 v74, v73
	v_add_f32_e32 v66, v71, v66
	v_fmac_f32_e32 v72, 0x3f65296c, v48
	v_add_f32_e32 v67, v68, v67
	v_mov_b32_e32 v68, v64
	v_add_f32_e32 v46, v63, v46
	v_fmac_f32_e32 v64, 0xbe3c28d5, v47
	v_add_f32_e32 v26, v30, v26
	s_movk_i32 s4, 0x44
	v_fmac_f32_e32 v74, 0xbeb8f4ab, v47
	v_add_f32_e32 v66, v72, v66
	v_fmac_f32_e32 v73, 0x3eb8f4ab, v47
	v_fmac_f32_e32 v68, 0x3e3c28d5, v47
	v_add_f32_e32 v46, v64, v46
	v_add_f32_e32 v26, v34, v26
	v_mad_u32_u24 v47, v50, s4, 0
	v_add_f32_e32 v45, v74, v45
	v_add_f32_e32 v66, v73, v66
	;; [unrolled: 1-line block ×3, first 2 shown]
	ds_write2_b32 v47, v26, v46 offset1:1
	ds_write2_b32 v47, v66, v65 offset0:2 offset1:3
	ds_write2_b32 v47, v58, v55 offset0:4 offset1:5
	;; [unrolled: 1-line block ×7, first 2 shown]
	ds_write_b32 v47, v67 offset:64
.LBB0_13:
	s_or_b64 exec, exec, s[2:3]
	s_waitcnt vmcnt(16)
	v_lshl_add_u32 v26, v50, 2, 0
	v_add_u32_e32 v51, 0xa00, v26
	v_add_u32_e32 v52, 0xe00, v26
	;; [unrolled: 1-line block ×6, first 2 shown]
	s_waitcnt vmcnt(0) lgkmcnt(0)
	s_barrier
	ds_read2_b32 v[42:43], v26 offset1:119
	ds_read2_b32 v[36:37], v51 offset0:74 offset1:193
	ds_read2_b32 v[44:45], v52 offset0:56 offset1:175
	;; [unrolled: 1-line block ×6, first 2 shown]
	s_waitcnt lgkmcnt(0)
	s_barrier
	s_and_saveexec_b64 s[2:3], s[0:1]
	s_cbranch_execz .LBB0_15
; %bb.14:
	v_add_f32_e32 v57, v27, v33
	v_add_f32_e32 v57, v57, v29
	;; [unrolled: 1-line block ×14, first 2 shown]
	v_sub_f32_e32 v32, v32, v34
	v_add_f32_e32 v57, v31, v57
	v_add_f32_e32 v33, v33, v35
	v_mul_f32_e32 v34, 0xbeb8f4ab, v32
	s_mov_b32 s6, 0x3f6eb680
	v_mul_f32_e32 v58, 0xbf2c7751, v32
	s_mov_b32 s4, 0x3f3d2fb0
	;; [unrolled: 2-line block ×8, first 2 shown]
	v_sub_f32_e32 v28, v28, v30
	v_add_f32_e32 v57, v35, v57
	v_fma_f32 v35, v33, s6, -v34
	v_fmac_f32_e32 v34, 0x3f6eb680, v33
	v_fma_f32 v59, v33, s4, -v58
	v_fmac_f32_e32 v58, 0x3f3d2fb0, v33
	;; [unrolled: 2-line block ×8, first 2 shown]
	v_add_f32_e32 v29, v29, v31
	v_mul_f32_e32 v30, 0xbf2c7751, v28
	v_add_f32_e32 v35, v27, v35
	v_add_f32_e32 v34, v27, v34
	;; [unrolled: 1-line block ×16, first 2 shown]
	v_fma_f32 v31, v29, s4, -v30
	v_fmac_f32_e32 v30, 0x3f3d2fb0, v29
	v_mul_f32_e32 v32, 0xbf7ee86f, v28
	v_add_f32_e32 v30, v34, v30
	v_fma_f32 v33, v29, s0, -v32
	v_fmac_f32_e32 v32, 0x3dbcf732, v29
	v_mul_f32_e32 v34, 0xbf4c4adb, v28
	v_add_f32_e32 v31, v35, v31
	v_add_f32_e32 v32, v58, v32
	v_fma_f32 v35, v29, s7, -v34
	v_fmac_f32_e32 v34, 0xbf1a4643, v29
	v_mul_f32_e32 v58, 0xbe3c28d5, v28
	v_add_f32_e32 v33, v59, v33
	;; [unrolled: 5-line block ×4, first 2 shown]
	v_add_f32_e32 v60, v64, v60
	v_fma_f32 v63, v29, s5, -v62
	v_fmac_f32_e32 v62, 0xbe8c1d8e, v29
	v_mul_f32_e32 v64, 0x3f65296c, v28
	v_mul_f32_e32 v28, 0x3eb8f4ab, v28
	v_sub_f32_e32 v22, v22, v24
	v_add_f32_e32 v62, v66, v62
	v_fma_f32 v66, v29, s6, -v28
	v_fmac_f32_e32 v28, 0x3f6eb680, v29
	v_add_f32_e32 v23, v23, v25
	v_mul_f32_e32 v24, 0xbf65296c, v22
	v_add_f32_e32 v27, v27, v28
	v_fma_f32 v25, v23, s1, -v24
	v_fmac_f32_e32 v24, 0x3ee437d1, v23
	v_mul_f32_e32 v28, 0xbf4c4adb, v22
	v_add_f32_e32 v61, v65, v61
	v_fma_f32 v65, v29, s1, -v64
	v_fmac_f32_e32 v64, 0x3ee437d1, v29
	v_add_f32_e32 v24, v30, v24
	v_fma_f32 v29, v23, s7, -v28
	v_fmac_f32_e32 v28, 0xbf1a4643, v23
	v_mul_f32_e32 v30, 0x3e3c28d5, v22
	v_add_f32_e32 v25, v31, v25
	v_add_f32_e32 v28, v32, v28
	v_fma_f32 v31, v23, s11, -v30
	v_fmac_f32_e32 v30, 0xbf7ba420, v23
	v_mul_f32_e32 v32, 0x3f763a35, v22
	v_add_f32_e32 v29, v33, v29
	v_add_f32_e32 v30, v34, v30
	v_fma_f32 v33, v23, s5, -v32
	v_fmac_f32_e32 v32, 0xbe8c1d8e, v23
	v_mul_f32_e32 v34, 0x3f2c7751, v22
	v_add_f32_e32 v31, v35, v31
	v_add_f32_e32 v32, v58, v32
	v_fma_f32 v35, v23, s4, -v34
	v_fmac_f32_e32 v34, 0x3f3d2fb0, v23
	v_mul_f32_e32 v58, 0xbeb8f4ab, v22
	v_sub_f32_e32 v18, v18, v20
	v_add_f32_e32 v33, v59, v33
	v_add_f32_e32 v34, v60, v34
	v_fma_f32 v59, v23, s6, -v58
	v_fmac_f32_e32 v58, 0x3f6eb680, v23
	v_mul_f32_e32 v60, 0xbf7ee86f, v22
	v_mul_f32_e32 v22, 0xbf06c442, v22
	v_add_f32_e32 v19, v19, v21
	v_mul_f32_e32 v20, 0xbf7ee86f, v18
	v_add_f32_e32 v35, v61, v35
	v_add_f32_e32 v58, v62, v58
	v_fma_f32 v61, v23, s0, -v60
	v_fmac_f32_e32 v60, 0x3dbcf732, v23
	v_fma_f32 v62, v23, s10, -v22
	v_fmac_f32_e32 v22, 0xbf59a7d5, v23
	v_fma_f32 v21, v19, s0, -v20
	v_fmac_f32_e32 v20, 0x3dbcf732, v19
	v_mul_f32_e32 v23, 0xbe3c28d5, v18
	v_add_f32_e32 v21, v25, v21
	v_add_f32_e32 v20, v24, v20
	v_fma_f32 v24, v19, s11, -v23
	v_fmac_f32_e32 v23, 0xbf7ba420, v19
	v_mul_f32_e32 v25, 0x3f763a35, v18
	v_add_f32_e32 v22, v27, v22
	v_add_f32_e32 v23, v28, v23
	v_fma_f32 v27, v19, s5, -v25
	v_fmac_f32_e32 v25, 0xbe8c1d8e, v19
	v_mul_f32_e32 v28, 0x3eb8f4ab, v18
	v_add_f32_e32 v24, v29, v24
	v_add_f32_e32 v25, v30, v25
	v_fma_f32 v29, v19, s6, -v28
	v_fmac_f32_e32 v28, 0x3f6eb680, v19
	v_mul_f32_e32 v30, 0xbf65296c, v18
	v_add_f32_e32 v27, v31, v27
	v_add_f32_e32 v28, v32, v28
	v_fma_f32 v31, v19, s1, -v30
	v_fmac_f32_e32 v30, 0x3ee437d1, v19
	v_mul_f32_e32 v32, 0xbf06c442, v18
	v_sub_f32_e32 v14, v14, v16
	v_add_f32_e32 v29, v33, v29
	v_add_f32_e32 v30, v34, v30
	v_fma_f32 v33, v19, s10, -v32
	v_fmac_f32_e32 v32, 0xbf59a7d5, v19
	v_mul_f32_e32 v34, 0x3f4c4adb, v18
	v_mul_f32_e32 v18, 0x3f2c7751, v18
	v_add_f32_e32 v15, v15, v17
	v_mul_f32_e32 v16, 0xbf763a35, v14
	v_add_f32_e32 v31, v35, v31
	v_add_f32_e32 v32, v58, v32
	v_fma_f32 v35, v19, s7, -v34
	v_fmac_f32_e32 v34, 0xbf1a4643, v19
	v_fma_f32 v58, v19, s4, -v18
	v_fmac_f32_e32 v18, 0x3f3d2fb0, v19
	v_fma_f32 v17, v15, s5, -v16
	v_fmac_f32_e32 v16, 0xbe8c1d8e, v15
	v_mul_f32_e32 v19, 0x3f06c442, v14
	v_add_f32_e32 v17, v17, v21
	;; [unrolled: 38-line block ×5, first 2 shown]
	v_add_f32_e32 v65, v69, v65
	v_add_f32_e32 v64, v68, v64
	v_add_f32_e32 v66, v70, v66
	v_add_f32_e32 v5, v5, v9
	v_add_f32_e32 v4, v4, v8
	v_fma_f32 v8, v3, s6, -v7
	v_fmac_f32_e32 v7, 0x3f6eb680, v3
	v_mul_f32_e32 v9, 0xbf06c442, v2
	v_add_f32_e32 v59, v63, v59
	v_add_f32_e32 v61, v65, v61
	v_add_f32_e32 v60, v64, v60
	v_add_f32_e32 v62, v66, v62
	v_add_f32_e32 v6, v6, v10
	v_add_f32_e32 v7, v7, v11
	v_fma_f32 v10, v3, s10, -v9
	v_fmac_f32_e32 v9, 0xbf59a7d5, v3
	v_mul_f32_e32 v11, 0x3f2c7751, v2
	v_add_f32_e32 v33, v59, v33
	;; [unrolled: 9-line block ×4, first 2 shown]
	v_add_f32_e32 v27, v27, v31
	v_add_f32_e32 v25, v25, v30
	;; [unrolled: 1-line block ×5, first 2 shown]
	v_fma_f32 v16, v3, s1, -v15
	v_fmac_f32_e32 v15, 0x3ee437d1, v3
	v_mul_f32_e32 v17, 0xbf763a35, v2
	v_mul_f32_e32 v2, 0x3f7ee86f, v2
	v_add_f32_e32 v20, v20, v24
	v_add_f32_e32 v22, v22, v27
	;; [unrolled: 1-line block ×6, first 2 shown]
	v_fma_f32 v18, v3, s5, -v17
	v_fmac_f32_e32 v17, 0xbe8c1d8e, v3
	v_fma_f32 v19, v3, s0, -v2
	v_fmac_f32_e32 v2, 0x3dbcf732, v3
	v_lshl_add_u32 v3, v50, 6, v26
	v_add_f32_e32 v16, v16, v20
	v_add_f32_e32 v18, v18, v22
	;; [unrolled: 1-line block ×5, first 2 shown]
	ds_write2_b32 v3, v57, v5 offset1:1
	ds_write2_b32 v3, v8, v10 offset0:2 offset1:3
	ds_write2_b32 v3, v12, v14 offset0:4 offset1:5
	;; [unrolled: 1-line block ×7, first 2 shown]
	ds_write_b32 v3, v4 offset:64
.LBB0_15:
	s_or_b64 exec, exec, s[2:3]
	v_add_u32_e32 v16, 0x77, v50
	s_movk_i32 s0, 0xf1
	v_mul_lo_u16_sdwa v57, v50, s0 dst_sel:DWORD dst_unused:UNUSED_PAD src0_sel:BYTE_0 src1_sel:DWORD
	v_mul_lo_u16_sdwa v59, v16, s0 dst_sel:DWORD dst_unused:UNUSED_PAD src0_sel:BYTE_0 src1_sel:DWORD
	v_lshrrev_b16_e32 v35, 12, v57
	v_lshrrev_b16_e32 v60, 12, v59
	v_mul_lo_u16_e32 v3, 17, v35
	v_mul_lo_u16_e32 v4, 17, v60
	v_add_u32_e32 v19, 0xee, v50
	v_sub_u16_e32 v58, v50, v3
	v_mov_b32_e32 v3, 3
	v_sub_u16_e32 v61, v16, v4
	s_mov_b32 s0, 0xf0f1
	v_lshlrev_b32_sdwa v11, v3, v58 dst_sel:DWORD dst_unused:UNUSED_PAD src0_sel:DWORD src1_sel:BYTE_0
	v_lshlrev_b32_sdwa v12, v3, v61 dst_sel:DWORD dst_unused:UNUSED_PAD src0_sel:DWORD src1_sel:BYTE_0
	v_mul_u32_u24_sdwa v3, v19, s0 dst_sel:DWORD dst_unused:UNUSED_PAD src0_sel:WORD_0 src1_sel:DWORD
	v_lshrrev_b32_e32 v62, 20, v3
	v_add_u32_e32 v2, 0x165, v50
	v_mul_lo_u16_e32 v3, 17, v62
	v_sub_u16_e32 v63, v19, v3
	v_mul_u32_u24_sdwa v3, v2, s0 dst_sel:DWORD dst_unused:UNUSED_PAD src0_sel:WORD_0 src1_sel:DWORD
	v_lshrrev_b32_e32 v64, 20, v3
	v_mul_lo_u16_e32 v3, 17, v64
	v_add_u32_e32 v18, 0x1dc, v50
	v_add_u32_e32 v10, 0x253, v50
	;; [unrolled: 1-line block ×3, first 2 shown]
	v_lshlrev_b32_e32 v13, 3, v63
	v_sub_u16_e32 v65, v2, v3
	s_waitcnt lgkmcnt(0)
	s_barrier
	v_lshlrev_b32_e32 v14, 3, v65
	global_load_dwordx2 v[2:3], v11, s[8:9]
	global_load_dwordx2 v[4:5], v12, s[8:9]
	;; [unrolled: 1-line block ×4, first 2 shown]
	v_mul_u32_u24_sdwa v11, v18, s0 dst_sel:DWORD dst_unused:UNUSED_PAD src0_sel:WORD_0 src1_sel:DWORD
	v_mul_u32_u24_sdwa v12, v10, s0 dst_sel:DWORD dst_unused:UNUSED_PAD src0_sel:WORD_0 src1_sel:DWORD
	;; [unrolled: 1-line block ×3, first 2 shown]
	v_lshrrev_b32_e32 v66, 20, v11
	v_lshrrev_b32_e32 v68, 20, v12
	;; [unrolled: 1-line block ×3, first 2 shown]
	v_mul_lo_u16_e32 v11, 17, v66
	v_mul_lo_u16_e32 v12, 17, v68
	;; [unrolled: 1-line block ×3, first 2 shown]
	v_sub_u16_e32 v67, v18, v11
	v_sub_u16_e32 v69, v10, v12
	v_sub_u16_e32 v71, v17, v14
	v_lshlrev_b32_e32 v11, 3, v67
	v_lshlrev_b32_e32 v12, 3, v69
	;; [unrolled: 1-line block ×3, first 2 shown]
	global_load_dwordx2 v[10:11], v11, s[8:9]
	v_mul_u32_u24_e32 v35, 0x88, v35
	global_load_dwordx2 v[12:13], v12, s[8:9]
	s_mov_b32 s0, 0xbf5ff5aa
	global_load_dwordx2 v[14:15], v14, s[8:9]
	ds_read2_b32 v[20:21], v26 offset1:119
	ds_read2_b32 v[22:23], v51 offset0:74 offset1:193
	ds_read2_b32 v[24:25], v52 offset0:56 offset1:175
	;; [unrolled: 1-line block ×6, first 2 shown]
	s_waitcnt vmcnt(0) lgkmcnt(0)
	s_barrier
	s_mov_b32 s1, 0x3f3bfb3b
	s_mov_b32 s2, 0xbf3bfb3b
	;; [unrolled: 1-line block ×3, first 2 shown]
	v_mul_f32_e32 v72, v23, v3
	v_mul_f32_e32 v73, v24, v5
	;; [unrolled: 1-line block ×3, first 2 shown]
	v_fmac_f32_e32 v73, v44, v4
	v_fma_f32 v4, v24, v4, -v5
	v_mul_f32_e32 v3, v37, v3
	v_mul_f32_e32 v74, v25, v7
	;; [unrolled: 1-line block ×5, first 2 shown]
	v_fmac_f32_e32 v72, v37, v2
	v_fma_f32 v2, v23, v2, -v3
	v_fmac_f32_e32 v74, v45, v6
	v_fma_f32 v6, v25, v6, -v7
	;; [unrolled: 2-line block ×3, first 2 shown]
	v_sub_f32_e32 v2, v20, v2
	v_sub_f32_e32 v4, v21, v4
	;; [unrolled: 1-line block ×3, first 2 shown]
	v_mul_f32_e32 v76, v30, v11
	v_mul_f32_e32 v11, v47, v11
	;; [unrolled: 1-line block ×5, first 2 shown]
	v_fmac_f32_e32 v5, v49, v14
	v_mul_f32_e32 v15, v49, v15
	v_sub_f32_e32 v5, v36, v5
	v_mov_b32_e32 v49, 2
	v_fmac_f32_e32 v76, v47, v10
	v_fma_f32 v8, v30, v10, -v11
	v_fma_f32 v10, v34, v14, -v15
	v_sub_f32_e32 v11, v42, v72
	v_fma_f32 v34, v36, 2.0, -v5
	v_lshlrev_b32_sdwa v36, v49, v58 dst_sel:DWORD dst_unused:UNUSED_PAD src0_sel:DWORD src1_sel:BYTE_0
	v_fmac_f32_e32 v3, v48, v12
	v_fma_f32 v9, v33, v12, -v13
	v_fma_f32 v12, v42, 2.0, -v11
	v_add3_u32 v45, 0, v35, v36
	v_sub_f32_e32 v14, v43, v73
	ds_write2_b32 v45, v12, v11 offset1:17
	v_mul_u32_u24_e32 v11, 0x88, v60
	v_lshlrev_b32_sdwa v12, v49, v61 dst_sel:DWORD dst_unused:UNUSED_PAD src0_sel:DWORD src1_sel:BYTE_0
	v_fma_f32 v15, v43, 2.0, -v14
	v_add3_u32 v11, 0, v11, v12
	v_fma_f32 v13, v20, 2.0, -v2
	v_fma_f32 v20, v21, 2.0, -v4
	v_sub_f32_e32 v21, v40, v74
	ds_write2_b32 v11, v15, v14 offset1:17
	v_mul_u32_u24_e32 v12, 0x88, v62
	v_lshlrev_b32_e32 v14, 2, v63
	v_fma_f32 v23, v40, 2.0, -v21
	v_add3_u32 v12, 0, v12, v14
	v_mul_u32_u24_e32 v14, 0x88, v64
	v_lshlrev_b32_e32 v15, 2, v65
	v_sub_f32_e32 v29, v38, v76
	ds_write2_b32 v12, v23, v21 offset1:17
	v_add3_u32 v21, 0, v14, v15
	v_mul_u32_u24_e32 v14, 0x88, v66
	v_lshlrev_b32_e32 v15, 2, v67
	v_fma_f32 v25, v41, 2.0, -v24
	v_fma_f32 v30, v38, 2.0, -v29
	v_sub_f32_e32 v3, v39, v3
	v_add3_u32 v23, 0, v14, v15
	v_mul_u32_u24_e32 v14, 0x88, v68
	v_lshlrev_b32_e32 v15, 2, v69
	v_fma_f32 v33, v39, 2.0, -v3
	ds_write2_b32 v21, v25, v24 offset1:17
	ds_write2_b32 v23, v30, v29 offset1:17
	v_add3_u32 v29, 0, v14, v15
	ds_write2_b32 v29, v33, v3 offset1:17
	v_mul_u32_u24_e32 v3, 0x88, v70
	v_lshlrev_b32_e32 v14, 2, v71
	v_sub_f32_e32 v6, v27, v6
	v_sub_f32_e32 v7, v28, v7
	v_sub_f32_e32 v8, v31, v8
	v_sub_f32_e32 v9, v32, v9
	v_sub_f32_e32 v10, v22, v10
	v_add3_u32 v3, 0, v3, v14
	v_lshrrev_b16_e32 v67, 13, v57
	v_fma_f32 v27, v27, 2.0, -v6
	v_fma_f32 v28, v28, 2.0, -v7
	;; [unrolled: 1-line block ×5, first 2 shown]
	ds_write2_b32 v3, v34, v5 offset1:17
	s_waitcnt lgkmcnt(0)
	s_barrier
	ds_read2_b32 v[14:15], v26 offset1:119
	ds_read2_b32 v[24:25], v54 offset0:110 offset1:229
	ds_read2_b32 v[35:36], v56 offset0:92 offset1:211
	;; [unrolled: 1-line block ×6, first 2 shown]
	s_waitcnt lgkmcnt(0)
	s_barrier
	ds_write2_b32 v45, v13, v2 offset1:17
	ds_write2_b32 v11, v20, v4 offset1:17
	;; [unrolled: 1-line block ×7, first 2 shown]
	v_mul_lo_u16_e32 v2, 34, v67
	v_sub_u16_e32 v68, v50, v2
	v_mov_b32_e32 v20, 6
	v_mul_u32_u24_sdwa v2, v68, v20 dst_sel:DWORD dst_unused:UNUSED_PAD src0_sel:BYTE_0 src1_sel:DWORD
	v_lshlrev_b32_e32 v21, 3, v2
	s_waitcnt lgkmcnt(0)
	s_barrier
	global_load_dwordx4 v[2:5], v21, s[8:9] offset:136
	global_load_dwordx4 v[6:9], v21, s[8:9] offset:152
	;; [unrolled: 1-line block ×3, first 2 shown]
	v_lshrrev_b16_e32 v69, 13, v59
	v_mul_lo_u16_e32 v21, 34, v69
	v_sub_u16_e32 v70, v16, v21
	v_mul_u32_u24_sdwa v20, v70, v20 dst_sel:DWORD dst_unused:UNUSED_PAD src0_sel:BYTE_0 src1_sel:DWORD
	v_lshlrev_b32_e32 v45, 3, v20
	global_load_dwordx4 v[20:23], v45, s[8:9] offset:136
	global_load_dwordx4 v[27:30], v45, s[8:9] offset:152
	;; [unrolled: 1-line block ×3, first 2 shown]
	ds_read2_b32 v[45:46], v26 offset1:119
	ds_read2_b32 v[47:48], v54 offset0:110 offset1:229
	ds_read2_b32 v[57:58], v56 offset0:92 offset1:211
	;; [unrolled: 1-line block ×6, first 2 shown]
	s_waitcnt vmcnt(0) lgkmcnt(0)
	s_barrier
	v_mul_f32_e32 v71, v47, v3
	v_mul_f32_e32 v3, v24, v3
	v_fmac_f32_e32 v71, v24, v2
	v_fma_f32 v2, v47, v2, -v3
	v_mul_f32_e32 v3, v57, v5
	v_mul_f32_e32 v5, v35, v5
	v_fmac_f32_e32 v3, v35, v4
	v_fma_f32 v4, v57, v4, -v5
	;; [unrolled: 4-line block ×12, first 2 shown]
	v_add_f32_e32 v32, v71, v11
	v_add_f32_e32 v33, v2, v12
	v_sub_f32_e32 v2, v2, v12
	v_add_f32_e32 v12, v3, v9
	v_add_f32_e32 v34, v4, v10
	v_sub_f32_e32 v3, v3, v9
	v_add_f32_e32 v9, v5, v7
	v_sub_f32_e32 v5, v7, v5
	;; [unrolled: 2-line block ×4, first 2 shown]
	v_add_f32_e32 v8, v34, v33
	v_add_f32_e32 v7, v9, v7
	v_sub_f32_e32 v11, v71, v11
	v_sub_f32_e32 v36, v34, v33
	;; [unrolled: 1-line block ×4, first 2 shown]
	v_add_f32_e32 v37, v5, v3
	v_add_f32_e32 v8, v10, v8
	;; [unrolled: 1-line block ×3, first 2 shown]
	v_sub_f32_e32 v35, v12, v32
	v_sub_f32_e32 v32, v32, v9
	;; [unrolled: 1-line block ×3, first 2 shown]
	v_add_f32_e32 v38, v6, v4
	v_sub_f32_e32 v39, v5, v3
	v_sub_f32_e32 v40, v6, v4
	;; [unrolled: 1-line block ×3, first 2 shown]
	v_add_f32_e32 v9, v37, v11
	v_add_f32_e32 v37, v45, v8
	v_mov_b32_e32 v42, v10
	v_sub_f32_e32 v5, v11, v5
	v_sub_f32_e32 v6, v2, v6
	;; [unrolled: 1-line block ×3, first 2 shown]
	v_add_f32_e32 v2, v38, v2
	v_mul_f32_e32 v11, 0x3f4a47b2, v32
	v_mul_f32_e32 v14, 0x3f4a47b2, v33
	;; [unrolled: 1-line block ×7, first 2 shown]
	v_fmac_f32_e32 v42, 0xbf955555, v7
	v_mov_b32_e32 v7, v37
	v_mul_f32_e32 v40, 0xbf5ff5aa, v3
	v_fmac_f32_e32 v7, 0xbf955555, v8
	v_fma_f32 v8, v35, s1, -v32
	v_fma_f32 v32, v36, s1, -v33
	;; [unrolled: 1-line block ×5, first 2 shown]
	v_fmac_f32_e32 v39, 0xbeae86e6, v6
	v_fma_f32 v6, v6, s3, -v41
	v_fmac_f32_e32 v11, 0x3d64c772, v12
	v_fma_f32 v12, v36, s2, -v14
	v_fmac_f32_e32 v14, 0x3d64c772, v34
	v_fmac_f32_e32 v38, 0xbeae86e6, v5
	v_fma_f32 v5, v5, s3, -v40
	v_add_f32_e32 v8, v8, v42
	v_add_f32_e32 v32, v32, v7
	v_add_f32_e32 v33, v33, v42
	v_fmac_f32_e32 v3, 0xbee1c552, v9
	v_fmac_f32_e32 v4, 0xbee1c552, v2
	;; [unrolled: 1-line block ×3, first 2 shown]
	v_add_f32_e32 v11, v11, v42
	v_add_f32_e32 v14, v14, v7
	;; [unrolled: 1-line block ×3, first 2 shown]
	v_fmac_f32_e32 v38, 0xbee1c552, v9
	v_fmac_f32_e32 v39, 0xbee1c552, v2
	;; [unrolled: 1-line block ×3, first 2 shown]
	v_add_f32_e32 v9, v6, v33
	v_sub_f32_e32 v12, v8, v4
	v_add_f32_e32 v36, v3, v32
	v_add_f32_e32 v4, v4, v8
	v_sub_f32_e32 v32, v32, v3
	v_sub_f32_e32 v3, v33, v6
	v_add_f32_e32 v6, v13, v30
	v_sub_f32_e32 v8, v13, v30
	v_add_f32_e32 v13, v21, v28
	v_add_f32_e32 v2, v39, v11
	v_sub_f32_e32 v34, v14, v38
	v_sub_f32_e32 v35, v7, v5
	v_add_f32_e32 v33, v5, v7
	v_sub_f32_e32 v5, v11, v39
	v_add_f32_e32 v38, v38, v14
	v_add_f32_e32 v7, v20, v31
	v_sub_f32_e32 v11, v20, v31
	v_add_f32_e32 v14, v22, v29
	v_sub_f32_e32 v20, v21, v28
	v_sub_f32_e32 v21, v22, v29
	v_add_f32_e32 v22, v23, v25
	v_sub_f32_e32 v23, v25, v23
	v_add_f32_e32 v25, v13, v6
	v_add_f32_e32 v28, v24, v27
	v_sub_f32_e32 v24, v27, v24
	v_add_f32_e32 v27, v14, v7
	v_sub_f32_e32 v29, v13, v6
	v_sub_f32_e32 v6, v6, v22
	;; [unrolled: 1-line block ×3, first 2 shown]
	v_add_f32_e32 v22, v22, v25
	v_add_f32_e32 v25, v28, v27
	;; [unrolled: 1-line block ×3, first 2 shown]
	v_sub_f32_e32 v30, v14, v7
	v_sub_f32_e32 v7, v7, v28
	;; [unrolled: 1-line block ×3, first 2 shown]
	v_add_f32_e32 v31, v23, v20
	v_add_f32_e32 v39, v24, v21
	v_sub_f32_e32 v40, v23, v20
	v_sub_f32_e32 v41, v24, v21
	;; [unrolled: 1-line block ×4, first 2 shown]
	v_add_f32_e32 v27, v46, v25
	v_mov_b32_e32 v43, v15
	v_sub_f32_e32 v23, v8, v23
	v_sub_f32_e32 v24, v11, v24
	v_add_f32_e32 v8, v31, v8
	v_add_f32_e32 v11, v39, v11
	v_mul_f32_e32 v6, 0x3f4a47b2, v6
	v_mul_f32_e32 v7, 0x3f4a47b2, v7
	;; [unrolled: 1-line block ×8, first 2 shown]
	v_fmac_f32_e32 v43, 0xbf955555, v22
	v_mov_b32_e32 v22, v27
	v_fmac_f32_e32 v22, 0xbf955555, v25
	v_fma_f32 v25, v29, s1, -v28
	v_fma_f32 v28, v30, s1, -v31
	;; [unrolled: 1-line block ×3, first 2 shown]
	v_fmac_f32_e32 v6, 0x3d64c772, v13
	v_fma_f32 v13, v30, s2, -v7
	v_fmac_f32_e32 v7, 0x3d64c772, v14
	v_fma_f32 v14, v20, s0, -v39
	;; [unrolled: 2-line block ×3, first 2 shown]
	v_fma_f32 v21, v23, s3, -v41
	v_fma_f32 v23, v24, s3, -v42
	v_fmac_f32_e32 v40, 0xbeae86e6, v24
	v_add_f32_e32 v7, v7, v22
	v_add_f32_e32 v24, v25, v43
	v_add_f32_e32 v25, v28, v22
	v_add_f32_e32 v28, v29, v43
	v_add_f32_e32 v13, v13, v22
	v_fmac_f32_e32 v39, 0xbee1c552, v8
	v_fmac_f32_e32 v14, 0xbee1c552, v8
	;; [unrolled: 1-line block ×6, first 2 shown]
	v_sub_f32_e32 v22, v7, v39
	v_add_f32_e32 v11, v23, v28
	v_sub_f32_e32 v29, v13, v21
	v_sub_f32_e32 v30, v24, v20
	v_add_f32_e32 v31, v14, v25
	v_add_f32_e32 v20, v20, v24
	v_sub_f32_e32 v24, v25, v14
	v_sub_f32_e32 v14, v28, v23
	v_add_f32_e32 v21, v21, v13
	v_add_f32_e32 v23, v39, v7
	v_mul_u32_u24_e32 v7, 0x3b8, v67
	v_lshlrev_b32_sdwa v13, v49, v68 dst_sel:DWORD dst_unused:UNUSED_PAD src0_sel:DWORD src1_sel:BYTE_0
	v_add3_u32 v25, 0, v7, v13
	v_add_f32_e32 v6, v6, v43
	ds_write2_b32 v25, v10, v2 offset1:34
	ds_write2_b32 v25, v9, v12 offset0:68 offset1:102
	ds_write2_b32 v25, v4, v3 offset0:136 offset1:170
	ds_write_b32 v25, v5 offset:816
	v_mul_u32_u24_e32 v2, 0x3b8, v69
	v_lshlrev_b32_sdwa v3, v49, v70 dst_sel:DWORD dst_unused:UNUSED_PAD src0_sel:DWORD src1_sel:BYTE_0
	v_add_f32_e32 v8, v40, v6
	v_sub_f32_e32 v6, v6, v40
	v_add3_u32 v28, 0, v2, v3
	ds_write2_b32 v28, v15, v8 offset1:34
	ds_write2_b32 v28, v11, v30 offset0:68 offset1:102
	ds_write2_b32 v28, v20, v14 offset0:136 offset1:170
	ds_write_b32 v28, v6 offset:816
	s_waitcnt lgkmcnt(0)
	s_barrier
	ds_read2_b32 v[2:3], v26 offset1:119
	ds_read2_b32 v[12:13], v54 offset0:110 offset1:229
	ds_read2_b32 v[4:5], v56 offset0:92 offset1:211
	;; [unrolled: 1-line block ×6, first 2 shown]
	s_waitcnt lgkmcnt(0)
	s_barrier
	ds_write2_b32 v25, v37, v34 offset1:34
	ds_write2_b32 v25, v35, v36 offset0:68 offset1:102
	ds_write2_b32 v25, v32, v33 offset0:136 offset1:170
	ds_write_b32 v25, v38 offset:816
	ds_write2_b32 v28, v27, v22 offset1:34
	ds_write2_b32 v28, v29, v31 offset0:68 offset1:102
	ds_write2_b32 v28, v24, v21 offset0:136 offset1:170
	ds_write_b32 v28, v23 offset:816
	s_waitcnt lgkmcnt(0)
	s_barrier
	s_and_saveexec_b64 s[4:5], vcc
	s_cbranch_execz .LBB0_17
; %bb.16:
	v_mul_u32_u24_e32 v20, 6, v16
	v_lshlrev_b32_e32 v24, 3, v20
	global_load_dwordx4 v[20:23], v24, s[8:9] offset:1768
	global_load_dwordx4 v[27:30], v24, s[8:9] offset:1800
	;; [unrolled: 1-line block ×3, first 2 shown]
	v_add_u32_e32 v35, 0x200, v26
	v_add_u32_e32 v36, 0x1600, v26
	;; [unrolled: 1-line block ×6, first 2 shown]
	ds_read2_b32 v[24:25], v26 offset1:119
	v_mul_u32_u24_e32 v26, 6, v50
	v_lshlrev_b32_e32 v26, 3, v26
	ds_read2_b32 v[47:48], v35 offset0:110 offset1:229
	ds_read2_b32 v[51:52], v36 offset0:20 offset1:139
	;; [unrolled: 1-line block ×6, first 2 shown]
	global_load_dwordx4 v[35:38], v26, s[8:9] offset:1768
	global_load_dwordx4 v[39:42], v26, s[8:9] offset:1800
	;; [unrolled: 1-line block ×3, first 2 shown]
	s_waitcnt vmcnt(5)
	v_mul_f32_e32 v26, v13, v20
	s_waitcnt vmcnt(4)
	v_mul_f32_e32 v49, v15, v29
	;; [unrolled: 2-line block ×3, first 2 shown]
	v_mul_f32_e32 v62, v11, v31
	v_mul_f32_e32 v63, v5, v22
	;; [unrolled: 1-line block ×9, first 2 shown]
	s_waitcnt lgkmcnt(5)
	v_fmac_f32_e32 v26, v48, v21
	s_waitcnt lgkmcnt(4)
	v_fmac_f32_e32 v49, v52, v30
	;; [unrolled: 2-line block ×6, first 2 shown]
	v_fma_f32 v15, v52, v29, -v15
	v_fma_f32 v13, v48, v20, -v13
	;; [unrolled: 1-line block ×6, first 2 shown]
	v_add_f32_e32 v29, v13, v15
	v_add_f32_e32 v21, v9, v11
	;; [unrolled: 1-line block ×6, first 2 shown]
	v_sub_f32_e32 v27, v26, v49
	v_sub_f32_e32 v20, v61, v62
	v_sub_f32_e32 v28, v63, v64
	v_sub_f32_e32 v26, v21, v30
	v_add_f32_e32 v33, v29, v30
	v_sub_f32_e32 v48, v22, v32
	v_add_f32_e32 v49, v31, v32
	v_sub_f32_e32 v13, v13, v15
	v_sub_f32_e32 v9, v9, v11
	;; [unrolled: 1-line block ×4, first 2 shown]
	v_add_f32_e32 v20, v20, v28
	v_sub_f32_e32 v34, v31, v22
	v_mul_f32_e32 v58, 0x3d64c772, v26
	v_add_f32_e32 v26, v21, v33
	v_mul_f32_e32 v48, 0x3d64c772, v48
	v_add_f32_e32 v22, v22, v49
	v_sub_f32_e32 v23, v29, v21
	v_add_f32_e32 v54, v27, v20
	v_add_f32_e32 v21, v25, v26
	v_mov_b32_e32 v25, v48
	v_add_f32_e32 v20, v3, v22
	v_mul_f32_e32 v33, 0x3f4a47b2, v34
	v_fmac_f32_e32 v25, 0x3f4a47b2, v34
	v_mov_b32_e32 v34, v20
	v_mul_f32_e32 v15, 0x3f08b237, v15
	v_fmac_f32_e32 v34, 0xbf955555, v22
	v_sub_f32_e32 v5, v5, v7
	v_sub_f32_e32 v27, v28, v27
	;; [unrolled: 1-line block ×3, first 2 shown]
	v_mul_f32_e32 v56, 0x3f4a47b2, v23
	v_mov_b32_e32 v49, v15
	v_mov_b32_e32 v3, v21
	v_add_f32_e32 v61, v25, v34
	v_sub_f32_e32 v7, v9, v5
	v_add_f32_e32 v9, v9, v5
	v_mul_f32_e32 v25, 0xbf5ff5aa, v27
	v_sub_f32_e32 v28, v30, v29
	v_sub_f32_e32 v5, v5, v13
	v_mov_b32_e32 v60, v58
	v_fmac_f32_e32 v49, 0xbeae86e6, v11
	v_fmac_f32_e32 v3, 0xbf955555, v26
	v_mul_f32_e32 v7, 0x3f08b237, v7
	v_add_f32_e32 v9, v13, v9
	v_fma_f32 v11, v11, s3, -v25
	v_fma_f32 v25, v28, s2, -v56
	v_sub_f32_e32 v29, v32, v31
	v_mul_f32_e32 v13, 0xbf5ff5aa, v5
	v_fmac_f32_e32 v60, 0x3f4a47b2, v23
	v_mov_b32_e32 v62, v7
	v_add_f32_e32 v56, v25, v3
	v_fma_f32 v25, v29, s2, -v33
	v_fma_f32 v13, v52, s3, -v13
	;; [unrolled: 1-line block ×6, first 2 shown]
	v_fmac_f32_e32 v49, 0xbee1c552, v54
	v_add_f32_e32 v60, v60, v3
	v_fmac_f32_e32 v62, 0xbeae86e6, v52
	v_add_f32_e32 v31, v25, v34
	;; [unrolled: 2-line block ×3, first 2 shown]
	v_fmac_f32_e32 v15, 0xbee1c552, v54
	v_fmac_f32_e32 v5, 0xbee1c552, v9
	v_add_f32_e32 v7, v7, v34
	v_add_f32_e32 v23, v49, v60
	v_fmac_f32_e32 v62, 0xbee1c552, v9
	v_sub_f32_e32 v25, v31, v13
	v_sub_f32_e32 v28, v3, v15
	v_add_f32_e32 v27, v5, v7
	v_add_f32_e32 v30, v15, v3
	v_sub_f32_e32 v29, v7, v5
	v_add_f32_e32 v31, v13, v31
	v_sub_f32_e32 v34, v60, v49
	s_waitcnt vmcnt(2)
	v_mul_f32_e32 v7, v12, v35
	s_waitcnt vmcnt(1)
	v_mul_f32_e32 v9, v14, v41
	;; [unrolled: 2-line block ×3, first 2 shown]
	v_mul_f32_e32 v15, v10, v43
	v_mul_f32_e32 v49, v4, v37
	;; [unrolled: 1-line block ×3, first 2 shown]
	v_fmac_f32_e32 v11, 0xbee1c552, v54
	v_fmac_f32_e32 v7, v47, v36
	;; [unrolled: 1-line block ×7, first 2 shown]
	v_add_f32_e32 v26, v11, v56
	v_sub_f32_e32 v32, v56, v11
	v_sub_f32_e32 v11, v7, v9
	;; [unrolled: 1-line block ×6, first 2 shown]
	v_add_f32_e32 v3, v3, v54
	v_add_f32_e32 v60, v11, v3
	v_mul_f32_e32 v3, v14, v42
	v_mul_f32_e32 v6, v6, v40
	v_add_f32_e32 v9, v7, v9
	v_add_f32_e32 v7, v13, v15
	;; [unrolled: 1-line block ×3, first 2 shown]
	v_fma_f32 v14, v51, v41, -v3
	v_mul_f32_e32 v3, v12, v36
	v_sub_f32_e32 v41, v7, v40
	v_fma_f32 v12, v47, v35, -v3
	v_mul_f32_e32 v3, v10, v44
	v_mul_f32_e32 v41, 0x3d64c772, v41
	v_fma_f32 v10, v55, v43, -v3
	v_mul_f32_e32 v3, v8, v46
	v_mul_f32_e32 v4, v4, v38
	v_sub_f32_e32 v13, v9, v7
	v_mov_b32_e32 v42, v41
	v_fma_f32 v8, v53, v45, -v3
	v_fma_f32 v6, v59, v39, -v6
	;; [unrolled: 1-line block ×3, first 2 shown]
	v_mul_f32_e32 v15, 0x3f4a47b2, v13
	v_fmac_f32_e32 v42, 0x3f4a47b2, v13
	v_add_f32_e32 v13, v9, v40
	v_add_f32_e32 v3, v8, v10
	;; [unrolled: 1-line block ×4, first 2 shown]
	v_sub_f32_e32 v38, v3, v37
	v_add_f32_e32 v2, v2, v7
	v_add_f32_e32 v35, v12, v14
	v_mul_f32_e32 v38, 0x3d64c772, v38
	v_mov_b32_e32 v13, v2
	v_mul_f32_e32 v56, 0x3f08b237, v5
	v_sub_f32_e32 v5, v35, v3
	v_mov_b32_e32 v39, v38
	v_fmac_f32_e32 v13, 0xbf955555, v7
	v_sub_f32_e32 v7, v8, v10
	v_sub_f32_e32 v6, v4, v6
	v_mul_f32_e32 v36, 0x3f4a47b2, v5
	v_fmac_f32_e32 v39, 0x3f4a47b2, v5
	v_add_f32_e32 v5, v35, v37
	v_sub_f32_e32 v4, v7, v6
	v_add_f32_e32 v5, v3, v5
	v_sub_f32_e32 v12, v12, v14
	v_mul_f32_e32 v10, 0x3f08b237, v4
	v_add_f32_e32 v4, v7, v6
	v_add_f32_e32 v3, v24, v5
	v_sub_f32_e32 v8, v12, v7
	v_add_f32_e32 v14, v12, v4
	v_sub_f32_e32 v11, v54, v11
	v_sub_f32_e32 v12, v6, v12
	v_mov_b32_e32 v24, v3
	v_mov_b32_e32 v43, v10
	v_mul_f32_e32 v7, 0xbf5ff5aa, v11
	v_sub_f32_e32 v35, v37, v35
	v_mul_f32_e32 v6, 0xbf5ff5aa, v12
	v_fmac_f32_e32 v24, 0xbf955555, v5
	v_fmac_f32_e32 v43, 0xbeae86e6, v8
	v_fma_f32 v44, v48, s3, -v7
	v_fma_f32 v7, v35, s2, -v36
	v_sub_f32_e32 v37, v40, v9
	v_fma_f32 v45, v8, s3, -v6
	v_fma_f32 v8, v35, s1, -v38
	v_add_f32_e32 v39, v39, v24
	v_add_f32_e32 v36, v7, v24
	v_fma_f32 v9, v37, s2, -v15
	v_add_f32_e32 v15, v8, v24
	v_fma_f32 v24, v11, s0, -v56
	v_fma_f32 v12, v12, s0, -v10
	;; [unrolled: 1-line block ×3, first 2 shown]
	v_mad_u64_u32 v[10:11], s[0:1], s12, v50, 0
	v_fmac_f32_e32 v43, 0xbee1c552, v14
	v_fmac_f32_e32 v45, 0xbee1c552, v14
	;; [unrolled: 1-line block ×3, first 2 shown]
	v_add_f32_e32 v14, v8, v13
	v_fmac_f32_e32 v44, 0xbee1c552, v60
	v_fmac_f32_e32 v24, 0xbee1c552, v60
	v_add_f32_e32 v8, v12, v14
	v_sub_f32_e32 v12, v14, v12
	v_add_f32_e32 v42, v42, v13
	v_add_f32_e32 v7, v44, v36
	;; [unrolled: 1-line block ×3, first 2 shown]
	v_sub_f32_e32 v9, v15, v24
	v_add_f32_e32 v13, v24, v15
	v_sub_f32_e32 v15, v36, v44
	v_mad_u64_u32 v[35:36], s[0:1], s13, v50, v[11:12]
	v_mov_b32_e32 v58, v56
	v_fmac_f32_e32 v58, 0xbeae86e6, v48
	v_fmac_f32_e32 v58, 0xbee1c552, v60
	v_add_f32_e32 v5, v58, v39
	v_sub_f32_e32 v37, v39, v58
	v_mov_b32_e32 v11, v35
	v_mov_b32_e32 v24, s15
	v_mad_u64_u32 v[38:39], s[0:1], s12, v19, 0
	v_add_co_u32_e32 v35, vcc, s14, v0
	v_addc_co_u32_e32 v24, vcc, v24, v1, vcc
	v_lshlrev_b64 v[0:1], 3, v[10:11]
	v_mov_b32_e32 v10, v39
	v_add_co_u32_e32 v0, vcc, v35, v0
	v_addc_co_u32_e32 v1, vcc, v24, v1, vcc
	v_mad_u64_u32 v[10:11], s[0:1], s13, v19, v[10:11]
	global_store_dwordx2 v[0:1], v[2:3], off
	v_mad_u64_u32 v[2:3], s[0:1], s12, v18, 0
	v_sub_f32_e32 v4, v42, v43
	v_mov_b32_e32 v39, v10
	v_mad_u64_u32 v[10:11], s[0:1], s13, v18, v[3:4]
	v_lshlrev_b64 v[0:1], 3, v[38:39]
	v_mad_u64_u32 v[18:19], s[0:1], s12, v17, 0
	v_add_co_u32_e32 v0, vcc, v35, v0
	v_add_f32_e32 v36, v43, v42
	v_addc_co_u32_e32 v1, vcc, v24, v1, vcc
	v_mov_b32_e32 v3, v10
	global_store_dwordx2 v[0:1], v[36:37], off
	v_lshlrev_b64 v[0:1], 3, v[2:3]
	v_mov_b32_e32 v2, v19
	v_mad_u64_u32 v[2:3], s[0:1], s13, v17, v[2:3]
	v_add_u32_e32 v10, 0x3b8, v50
	v_add_co_u32_e32 v0, vcc, v35, v0
	v_mov_b32_e32 v19, v2
	v_mad_u64_u32 v[2:3], s[0:1], s12, v10, 0
	v_add_f32_e32 v14, v45, v40
	v_addc_co_u32_e32 v1, vcc, v24, v1, vcc
	v_mad_u64_u32 v[10:11], s[0:1], s13, v10, v[3:4]
	v_add_u32_e32 v11, 0x4a6, v50
	global_store_dwordx2 v[0:1], v[14:15], off
	v_lshlrev_b64 v[0:1], 3, v[18:19]
	v_mad_u64_u32 v[14:15], s[0:1], s12, v11, 0
	v_add_co_u32_e32 v0, vcc, v35, v0
	v_addc_co_u32_e32 v1, vcc, v24, v1, vcc
	v_mov_b32_e32 v3, v10
	global_store_dwordx2 v[0:1], v[12:13], off
	v_lshlrev_b64 v[0:1], 3, v[2:3]
	v_mov_b32_e32 v2, v15
	v_mad_u64_u32 v[2:3], s[0:1], s13, v11, v[2:3]
	v_add_co_u32_e32 v0, vcc, v35, v0
	v_addc_co_u32_e32 v1, vcc, v24, v1, vcc
	global_store_dwordx2 v[0:1], v[8:9], off
	v_add_u32_e32 v8, 0x594, v50
	v_mov_b32_e32 v15, v2
	v_mad_u64_u32 v[2:3], s[0:1], s12, v8, 0
	s_mov_b32 s0, 0x44d72045
	v_mul_hi_u32 v10, v16, s0
	s_movk_i32 s2, 0x594
	v_mad_u64_u32 v[8:9], s[0:1], s13, v8, v[3:4]
	v_lshrrev_b32_e32 v3, 6, v10
	v_mad_u32_u24 v11, v3, s2, v16
	v_lshlrev_b64 v[0:1], 3, v[14:15]
	v_mad_u64_u32 v[9:10], s[0:1], s12, v11, 0
	v_add_co_u32_e32 v0, vcc, v35, v0
	v_sub_f32_e32 v6, v40, v45
	v_addc_co_u32_e32 v1, vcc, v24, v1, vcc
	v_mov_b32_e32 v3, v8
	global_store_dwordx2 v[0:1], v[6:7], off
	v_lshlrev_b64 v[0:1], 3, v[2:3]
	v_mov_b32_e32 v2, v10
	v_mad_u64_u32 v[2:3], s[0:1], s13, v11, v[2:3]
	v_add_co_u32_e32 v0, vcc, v35, v0
	v_addc_co_u32_e32 v1, vcc, v24, v1, vcc
	global_store_dwordx2 v[0:1], v[4:5], off
	v_add_u32_e32 v4, 0xee, v11
	v_mov_b32_e32 v10, v2
	v_mad_u64_u32 v[2:3], s[0:1], s12, v4, 0
	v_add_u32_e32 v6, 0x1dc, v11
	v_lshlrev_b64 v[0:1], 3, v[9:10]
	v_mad_u64_u32 v[3:4], s[0:1], s13, v4, v[3:4]
	v_mad_u64_u32 v[4:5], s[0:1], s12, v6, 0
	v_add_co_u32_e32 v0, vcc, v35, v0
	v_addc_co_u32_e32 v1, vcc, v24, v1, vcc
	global_store_dwordx2 v[0:1], v[20:21], off
	v_lshlrev_b64 v[0:1], 3, v[2:3]
	v_mov_b32_e32 v2, v5
	v_mad_u64_u32 v[2:3], s[0:1], s13, v6, v[2:3]
	v_add_co_u32_e32 v0, vcc, v35, v0
	v_add_f32_e32 v33, v62, v61
	v_addc_co_u32_e32 v1, vcc, v24, v1, vcc
	v_mov_b32_e32 v5, v2
	global_store_dwordx2 v[0:1], v[33:34], off
	v_lshlrev_b64 v[0:1], 3, v[4:5]
	v_add_u32_e32 v4, 0x2ca, v11
	v_mad_u64_u32 v[2:3], s[0:1], s12, v4, 0
	v_add_u32_e32 v6, 0x3b8, v11
	v_add_co_u32_e32 v0, vcc, v35, v0
	v_mad_u64_u32 v[3:4], s[0:1], s13, v4, v[3:4]
	v_mad_u64_u32 v[4:5], s[0:1], s12, v6, 0
	v_addc_co_u32_e32 v1, vcc, v24, v1, vcc
	global_store_dwordx2 v[0:1], v[31:32], off
	v_lshlrev_b64 v[0:1], 3, v[2:3]
	v_mov_b32_e32 v2, v5
	v_mad_u64_u32 v[2:3], s[0:1], s13, v6, v[2:3]
	v_add_co_u32_e32 v0, vcc, v35, v0
	v_addc_co_u32_e32 v1, vcc, v24, v1, vcc
	v_mov_b32_e32 v5, v2
	global_store_dwordx2 v[0:1], v[29:30], off
	v_lshlrev_b64 v[0:1], 3, v[4:5]
	v_add_u32_e32 v4, 0x4a6, v11
	v_mad_u64_u32 v[2:3], s[0:1], s12, v4, 0
	v_add_u32_e32 v6, 0x594, v11
	v_add_co_u32_e32 v0, vcc, v35, v0
	v_mad_u64_u32 v[3:4], s[0:1], s13, v4, v[3:4]
	v_mad_u64_u32 v[4:5], s[0:1], s12, v6, 0
	v_addc_co_u32_e32 v1, vcc, v24, v1, vcc
	global_store_dwordx2 v[0:1], v[27:28], off
	v_lshlrev_b64 v[0:1], 3, v[2:3]
	v_mov_b32_e32 v2, v5
	v_mad_u64_u32 v[2:3], s[0:1], s13, v6, v[2:3]
	v_add_co_u32_e32 v0, vcc, v35, v0
	v_addc_co_u32_e32 v1, vcc, v24, v1, vcc
	v_mov_b32_e32 v5, v2
	global_store_dwordx2 v[0:1], v[25:26], off
	v_lshlrev_b64 v[0:1], 3, v[4:5]
	v_sub_f32_e32 v22, v61, v62
	v_add_co_u32_e32 v0, vcc, v35, v0
	v_addc_co_u32_e32 v1, vcc, v24, v1, vcc
	global_store_dwordx2 v[0:1], v[22:23], off
.LBB0_17:
	s_endpgm
	.section	.rodata,"a",@progbits
	.p2align	6, 0x0
	.amdhsa_kernel fft_rtc_back_len1666_factors_17_2_7_7_wgs_119_tpt_119_halfLds_sp_ip_CI_sbrr_dirReg
		.amdhsa_group_segment_fixed_size 0
		.amdhsa_private_segment_fixed_size 0
		.amdhsa_kernarg_size 88
		.amdhsa_user_sgpr_count 6
		.amdhsa_user_sgpr_private_segment_buffer 1
		.amdhsa_user_sgpr_dispatch_ptr 0
		.amdhsa_user_sgpr_queue_ptr 0
		.amdhsa_user_sgpr_kernarg_segment_ptr 1
		.amdhsa_user_sgpr_dispatch_id 0
		.amdhsa_user_sgpr_flat_scratch_init 0
		.amdhsa_user_sgpr_private_segment_size 0
		.amdhsa_uses_dynamic_stack 0
		.amdhsa_system_sgpr_private_segment_wavefront_offset 0
		.amdhsa_system_sgpr_workgroup_id_x 1
		.amdhsa_system_sgpr_workgroup_id_y 0
		.amdhsa_system_sgpr_workgroup_id_z 0
		.amdhsa_system_sgpr_workgroup_info 0
		.amdhsa_system_vgpr_workitem_id 0
		.amdhsa_next_free_vgpr 77
		.amdhsa_next_free_sgpr 24
		.amdhsa_reserve_vcc 1
		.amdhsa_reserve_flat_scratch 0
		.amdhsa_float_round_mode_32 0
		.amdhsa_float_round_mode_16_64 0
		.amdhsa_float_denorm_mode_32 3
		.amdhsa_float_denorm_mode_16_64 3
		.amdhsa_dx10_clamp 1
		.amdhsa_ieee_mode 1
		.amdhsa_fp16_overflow 0
		.amdhsa_exception_fp_ieee_invalid_op 0
		.amdhsa_exception_fp_denorm_src 0
		.amdhsa_exception_fp_ieee_div_zero 0
		.amdhsa_exception_fp_ieee_overflow 0
		.amdhsa_exception_fp_ieee_underflow 0
		.amdhsa_exception_fp_ieee_inexact 0
		.amdhsa_exception_int_div_zero 0
	.end_amdhsa_kernel
	.text
.Lfunc_end0:
	.size	fft_rtc_back_len1666_factors_17_2_7_7_wgs_119_tpt_119_halfLds_sp_ip_CI_sbrr_dirReg, .Lfunc_end0-fft_rtc_back_len1666_factors_17_2_7_7_wgs_119_tpt_119_halfLds_sp_ip_CI_sbrr_dirReg
                                        ; -- End function
	.section	.AMDGPU.csdata,"",@progbits
; Kernel info:
; codeLenInByte = 11932
; NumSgprs: 28
; NumVgprs: 77
; ScratchSize: 0
; MemoryBound: 0
; FloatMode: 240
; IeeeMode: 1
; LDSByteSize: 0 bytes/workgroup (compile time only)
; SGPRBlocks: 3
; VGPRBlocks: 19
; NumSGPRsForWavesPerEU: 28
; NumVGPRsForWavesPerEU: 77
; Occupancy: 3
; WaveLimiterHint : 1
; COMPUTE_PGM_RSRC2:SCRATCH_EN: 0
; COMPUTE_PGM_RSRC2:USER_SGPR: 6
; COMPUTE_PGM_RSRC2:TRAP_HANDLER: 0
; COMPUTE_PGM_RSRC2:TGID_X_EN: 1
; COMPUTE_PGM_RSRC2:TGID_Y_EN: 0
; COMPUTE_PGM_RSRC2:TGID_Z_EN: 0
; COMPUTE_PGM_RSRC2:TIDIG_COMP_CNT: 0
	.type	__hip_cuid_4305a726a0a51c28,@object ; @__hip_cuid_4305a726a0a51c28
	.section	.bss,"aw",@nobits
	.globl	__hip_cuid_4305a726a0a51c28
__hip_cuid_4305a726a0a51c28:
	.byte	0                               ; 0x0
	.size	__hip_cuid_4305a726a0a51c28, 1

	.ident	"AMD clang version 19.0.0git (https://github.com/RadeonOpenCompute/llvm-project roc-6.4.0 25133 c7fe45cf4b819c5991fe208aaa96edf142730f1d)"
	.section	".note.GNU-stack","",@progbits
	.addrsig
	.addrsig_sym __hip_cuid_4305a726a0a51c28
	.amdgpu_metadata
---
amdhsa.kernels:
  - .args:
      - .actual_access:  read_only
        .address_space:  global
        .offset:         0
        .size:           8
        .value_kind:     global_buffer
      - .offset:         8
        .size:           8
        .value_kind:     by_value
      - .actual_access:  read_only
        .address_space:  global
        .offset:         16
        .size:           8
        .value_kind:     global_buffer
      - .actual_access:  read_only
        .address_space:  global
        .offset:         24
        .size:           8
        .value_kind:     global_buffer
      - .offset:         32
        .size:           8
        .value_kind:     by_value
      - .actual_access:  read_only
        .address_space:  global
        .offset:         40
        .size:           8
        .value_kind:     global_buffer
      - .actual_access:  read_only
        .address_space:  global
        .offset:         48
        .size:           8
        .value_kind:     global_buffer
      - .offset:         56
        .size:           4
        .value_kind:     by_value
      - .actual_access:  read_only
        .address_space:  global
        .offset:         64
        .size:           8
        .value_kind:     global_buffer
      - .actual_access:  read_only
        .address_space:  global
        .offset:         72
        .size:           8
        .value_kind:     global_buffer
      - .address_space:  global
        .offset:         80
        .size:           8
        .value_kind:     global_buffer
    .group_segment_fixed_size: 0
    .kernarg_segment_align: 8
    .kernarg_segment_size: 88
    .language:       OpenCL C
    .language_version:
      - 2
      - 0
    .max_flat_workgroup_size: 119
    .name:           fft_rtc_back_len1666_factors_17_2_7_7_wgs_119_tpt_119_halfLds_sp_ip_CI_sbrr_dirReg
    .private_segment_fixed_size: 0
    .sgpr_count:     28
    .sgpr_spill_count: 0
    .symbol:         fft_rtc_back_len1666_factors_17_2_7_7_wgs_119_tpt_119_halfLds_sp_ip_CI_sbrr_dirReg.kd
    .uniform_work_group_size: 1
    .uses_dynamic_stack: false
    .vgpr_count:     77
    .vgpr_spill_count: 0
    .wavefront_size: 64
amdhsa.target:   amdgcn-amd-amdhsa--gfx906
amdhsa.version:
  - 1
  - 2
...

	.end_amdgpu_metadata
